;; amdgpu-corpus repo=ROCm/rocFFT kind=compiled arch=gfx950 opt=O3
	.text
	.amdgcn_target "amdgcn-amd-amdhsa--gfx950"
	.amdhsa_code_object_version 6
	.protected	bluestein_single_back_len52_dim1_dp_op_CI_CI ; -- Begin function bluestein_single_back_len52_dim1_dp_op_CI_CI
	.globl	bluestein_single_back_len52_dim1_dp_op_CI_CI
	.p2align	8
	.type	bluestein_single_back_len52_dim1_dp_op_CI_CI,@function
bluestein_single_back_len52_dim1_dp_op_CI_CI: ; @bluestein_single_back_len52_dim1_dp_op_CI_CI
; %bb.0:
	s_load_dwordx4 s[16:19], s[0:1], 0x28
	v_lshrrev_b32_e32 v68, 2, v0
	v_mov_b32_e32 v167, 0
	v_lshl_or_b32 v164, s2, 4, v68
	v_mov_b32_e32 v165, v167
	s_waitcnt lgkmcnt(0)
	v_cmp_gt_u64_e32 vcc, s[16:17], v[164:165]
	s_and_saveexec_b64 s[2:3], vcc
	s_cbranch_execz .LBB0_10
; %bb.1:
	s_load_dwordx4 s[8:11], s[0:1], 0x18
	s_load_dwordx4 s[4:7], s[0:1], 0x0
	v_and_b32_e32 v165, 3, v0
	v_mov_b32_e32 v2, s18
	v_mov_b32_e32 v3, s19
	s_waitcnt lgkmcnt(0)
	s_load_dwordx4 s[12:15], s[8:9], 0x0
	v_lshlrev_b32_e32 v166, 4, v165
	v_mul_u32_u24_e32 v96, 52, v68
	v_or_b32_e32 v68, v96, v165
	v_lshlrev_b32_e32 v171, 4, v68
	s_waitcnt lgkmcnt(0)
	v_mad_u64_u32 v[0:1], s[2:3], s14, v164, 0
	v_mov_b32_e32 v6, v1
	v_mad_u64_u32 v[4:5], s[2:3], s12, v165, 0
	v_mad_u64_u32 v[6:7], s[2:3], s15, v164, v[6:7]
	v_mov_b32_e32 v1, v6
	v_mov_b32_e32 v6, v5
	v_mad_u64_u32 v[6:7], s[2:3], s13, v165, v[6:7]
	v_mov_b32_e32 v5, v6
	v_lshl_add_u64 v[0:1], v[0:1], 4, v[2:3]
	v_lshl_add_u64 v[0:1], v[4:5], 4, v[0:1]
	s_lshl_b64 s[2:3], s[12:13], 6
	global_load_dwordx4 v[4:7], v166, s[4:5]
	global_load_dwordx4 v[52:55], v[0:1], off
	v_lshl_add_u64 v[0:1], v[0:1], 0, s[2:3]
	global_load_dwordx4 v[56:59], v[0:1], off
	global_load_dwordx4 v[44:47], v166, s[4:5] offset:64
	v_lshl_add_u64 v[8:9], v[0:1], 0, s[2:3]
	v_lshl_add_u64 v[12:13], v[8:9], 0, s[2:3]
	global_load_dwordx4 v[60:63], v[8:9], off
	global_load_dwordx4 v[0:3], v166, s[4:5] offset:128
	s_nop 0
	global_load_dwordx4 v[8:11], v166, s[4:5] offset:192
	global_load_dwordx4 v[64:67], v[12:13], off
	v_lshl_add_u64 v[16:17], v[12:13], 0, s[2:3]
	global_load_dwordx4 v[70:73], v[16:17], off
	global_load_dwordx4 v[28:31], v166, s[4:5] offset:256
	global_load_dwordx4 v[12:15], v166, s[4:5] offset:320
	v_lshl_add_u64 v[16:17], v[16:17], 0, s[2:3]
	global_load_dwordx4 v[74:77], v[16:17], off
	v_lshl_add_u64 v[20:21], v[16:17], 0, s[2:3]
	global_load_dwordx4 v[78:81], v[20:21], off
	global_load_dwordx4 v[32:35], v166, s[4:5] offset:384
	global_load_dwordx4 v[16:19], v166, s[4:5] offset:448
	v_lshl_add_u64 v[20:21], v[20:21], 0, s[2:3]
	;; [unrolled: 6-line block ×4, first 2 shown]
	global_load_dwordx4 v[102:105], v[94:95], off
	global_load_dwordx4 v[48:51], v166, s[4:5] offset:768
	v_lshl_add_u64 v[94:95], v[94:95], 0, s[2:3]
	global_load_dwordx4 v[106:109], v[94:95], off
	v_lshl_or_b32 v170, v96, 4, v166
	s_load_dwordx2 s[8:9], s[0:1], 0x38
	s_mov_b32 s26, 0x42a4c3d2
	s_load_dwordx4 s[0:3], s[10:11], 0x0
	s_mov_b32 s36, 0x66966769
	s_mov_b32 s20, 0x2ef20147
	;; [unrolled: 1-line block ×29, first 2 shown]
	v_mul_u32_u24_e32 v97, 13, v165
	v_add_lshl_u32 v173, v96, v97, 4
	v_cmp_eq_u32_e32 vcc, 0, v165
	v_lshlrev_b32_e32 v172, 4, v96
	s_waitcnt vmcnt(24)
	v_mul_f64 v[110:111], v[54:55], v[6:7]
	v_mul_f64 v[68:69], v[52:53], v[6:7]
	v_fmac_f64_e32 v[110:111], v[52:53], v[4:5]
	v_fma_f64 v[112:113], v[54:55], v[4:5], -v[68:69]
	s_waitcnt vmcnt(22)
	v_mul_f64 v[52:53], v[58:59], v[46:47]
	v_mul_f64 v[54:55], v[56:57], v[46:47]
	v_fmac_f64_e32 v[52:53], v[56:57], v[44:45]
	v_fma_f64 v[54:55], v[58:59], v[44:45], -v[54:55]
	ds_write_b128 v171, v[110:113]
	ds_write_b128 v170, v[52:55] offset:64
	s_waitcnt vmcnt(18)
	v_mul_f64 v[52:53], v[66:67], v[10:11]
	v_mul_f64 v[54:55], v[64:65], v[10:11]
	v_fmac_f64_e32 v[52:53], v[64:65], v[8:9]
	v_fma_f64 v[54:55], v[66:67], v[8:9], -v[54:55]
	ds_write_b128 v170, v[52:55] offset:192
	s_waitcnt vmcnt(14)
	v_mul_f64 v[52:53], v[76:77], v[14:15]
	v_mul_f64 v[54:55], v[74:75], v[14:15]
	v_fmac_f64_e32 v[52:53], v[74:75], v[12:13]
	v_fma_f64 v[54:55], v[76:77], v[12:13], -v[54:55]
	;; [unrolled: 6-line block ×5, first 2 shown]
	v_mul_f64 v[56:57], v[62:63], v[2:3]
	v_mul_f64 v[58:59], v[60:61], v[2:3]
	ds_write_b128 v170, v[52:55] offset:576
	s_waitcnt vmcnt(4)
	v_mul_f64 v[52:53], v[100:101], v[42:43]
	v_mul_f64 v[54:55], v[98:99], v[42:43]
	v_fmac_f64_e32 v[56:57], v[60:61], v[0:1]
	v_fma_f64 v[58:59], v[62:63], v[0:1], -v[58:59]
	v_fmac_f64_e32 v[52:53], v[98:99], v[40:41]
	v_fma_f64 v[54:55], v[100:101], v[40:41], -v[54:55]
	ds_write_b128 v170, v[56:59] offset:128
	v_mul_f64 v[56:57], v[72:73], v[30:31]
	v_mul_f64 v[58:59], v[70:71], v[30:31]
	ds_write_b128 v170, v[52:55] offset:640
	s_waitcnt vmcnt(2)
	v_mul_f64 v[52:53], v[104:105], v[26:27]
	v_mul_f64 v[54:55], v[102:103], v[26:27]
	v_fmac_f64_e32 v[56:57], v[70:71], v[28:29]
	v_fma_f64 v[58:59], v[72:73], v[28:29], -v[58:59]
	v_fmac_f64_e32 v[52:53], v[102:103], v[24:25]
	v_fma_f64 v[54:55], v[104:105], v[24:25], -v[54:55]
	ds_write_b128 v170, v[56:59] offset:256
	;; [unrolled: 11-line block ×3, first 2 shown]
	ds_write_b128 v170, v[52:55] offset:768
	s_waitcnt lgkmcnt(0)
	; wave barrier
	s_waitcnt lgkmcnt(0)
	ds_read_b128 v[84:87], v171
	ds_read_b128 v[98:101], v170 offset:64
	ds_read_b128 v[92:95], v170 offset:128
	;; [unrolled: 1-line block ×12, first 2 shown]
	s_waitcnt lgkmcnt(11)
	v_add_f64 v[52:53], v[84:85], v[98:99]
	v_add_f64 v[54:55], v[86:87], v[100:101]
	s_waitcnt lgkmcnt(10)
	v_add_f64 v[52:53], v[52:53], v[92:93]
	v_add_f64 v[54:55], v[54:55], v[94:95]
	;; [unrolled: 3-line block ×10, first 2 shown]
	s_waitcnt lgkmcnt(1)
	v_add_f64 v[52:53], v[52:53], v[102:103]
	s_waitcnt lgkmcnt(0)
	v_add_f64 v[112:113], v[100:101], v[108:109]
	v_add_f64 v[100:101], v[100:101], -v[108:109]
	v_add_f64 v[54:55], v[54:55], v[104:105]
	v_add_f64 v[52:53], v[52:53], v[106:107]
	;; [unrolled: 1-line block ×3, first 2 shown]
	v_add_f64 v[98:99], v[98:99], -v[106:107]
	v_mul_f64 v[106:107], v[100:101], s[16:17]
	v_mul_f64 v[118:119], v[100:101], s[26:27]
	v_mul_f64 v[126:127], v[100:101], s[36:37]
	v_mul_f64 v[134:135], v[100:101], s[20:21]
	v_mul_f64 v[142:143], v[100:101], s[24:25]
	v_mul_f64 v[100:101], v[100:101], s[34:35]
	v_add_f64 v[54:55], v[54:55], v[108:109]
	v_fma_f64 v[108:109], v[110:111], s[14:15], -v[106:107]
	v_mul_f64 v[114:115], v[98:99], s[16:17]
	v_fmac_f64_e32 v[106:107], s[14:15], v[110:111]
	v_fma_f64 v[120:121], v[110:111], s[12:13], -v[118:119]
	v_mul_f64 v[122:123], v[98:99], s[26:27]
	v_fmac_f64_e32 v[118:119], s[12:13], v[110:111]
	;; [unrolled: 3-line block ×6, first 2 shown]
	v_add_f64 v[108:109], v[84:85], v[108:109]
	v_fma_f64 v[116:117], s[14:15], v[112:113], v[114:115]
	v_add_f64 v[106:107], v[84:85], v[106:107]
	v_fma_f64 v[114:115], v[112:113], s[14:15], -v[114:115]
	v_add_f64 v[120:121], v[84:85], v[120:121]
	v_fma_f64 v[124:125], s[12:13], v[112:113], v[122:123]
	v_add_f64 v[118:119], v[84:85], v[118:119]
	v_fma_f64 v[122:123], v[112:113], s[12:13], -v[122:123]
	;; [unrolled: 4-line block ×6, first 2 shown]
	v_add_f64 v[100:101], v[94:95], v[104:105]
	v_add_f64 v[94:95], v[94:95], -v[104:105]
	v_add_f64 v[116:117], v[86:87], v[116:117]
	v_add_f64 v[114:115], v[86:87], v[114:115]
	v_add_f64 v[124:125], v[86:87], v[124:125]
	v_add_f64 v[122:123], v[86:87], v[122:123]
	v_add_f64 v[132:133], v[86:87], v[132:133]
	v_add_f64 v[130:131], v[86:87], v[130:131]
	v_add_f64 v[140:141], v[86:87], v[140:141]
	v_add_f64 v[138:139], v[86:87], v[138:139]
	v_add_f64 v[148:149], v[86:87], v[148:149]
	v_add_f64 v[146:147], v[86:87], v[146:147]
	v_add_f64 v[152:153], v[86:87], v[152:153]
	v_add_f64 v[86:87], v[86:87], v[98:99]
	v_add_f64 v[98:99], v[92:93], v[102:103]
	v_add_f64 v[92:93], v[92:93], -v[102:103]
	v_mul_f64 v[102:103], v[94:95], s[26:27]
	v_fma_f64 v[104:105], v[98:99], s[12:13], -v[102:103]
	v_add_f64 v[104:105], v[104:105], v[108:109]
	v_mul_f64 v[108:109], v[92:93], s[26:27]
	v_fmac_f64_e32 v[102:103], s[12:13], v[98:99]
	v_fma_f64 v[110:111], s[12:13], v[100:101], v[108:109]
	v_add_f64 v[102:103], v[102:103], v[106:107]
	v_fma_f64 v[106:107], v[100:101], s[12:13], -v[108:109]
	v_mul_f64 v[108:109], v[94:95], s[20:21]
	v_fma_f64 v[112:113], v[98:99], s[18:19], -v[108:109]
	v_fmac_f64_e32 v[108:109], s[18:19], v[98:99]
	v_add_f64 v[106:107], v[106:107], v[114:115]
	v_mul_f64 v[114:115], v[92:93], s[20:21]
	v_add_f64 v[108:109], v[108:109], v[118:119]
	v_mul_f64 v[118:119], v[94:95], s[34:35]
	v_add_f64 v[110:111], v[110:111], v[116:117]
	v_add_f64 v[112:113], v[112:113], v[120:121]
	v_fma_f64 v[116:117], s[18:19], v[100:101], v[114:115]
	v_fma_f64 v[114:115], v[100:101], s[18:19], -v[114:115]
	v_fma_f64 v[120:121], v[98:99], s[30:31], -v[118:119]
	v_fmac_f64_e32 v[118:119], s[30:31], v[98:99]
	v_add_f64 v[114:115], v[114:115], v[122:123]
	v_mul_f64 v[122:123], v[92:93], s[34:35]
	v_add_f64 v[118:119], v[118:119], v[126:127]
	v_mul_f64 v[126:127], v[94:95], s[38:39]
	v_add_f64 v[116:117], v[116:117], v[124:125]
	v_add_f64 v[120:121], v[120:121], v[128:129]
	v_fma_f64 v[124:125], s[30:31], v[100:101], v[122:123]
	v_fma_f64 v[122:123], v[100:101], s[30:31], -v[122:123]
	v_fma_f64 v[128:129], v[98:99], s[22:23], -v[126:127]
	v_fmac_f64_e32 v[126:127], s[22:23], v[98:99]
	v_add_f64 v[122:123], v[122:123], v[130:131]
	v_mul_f64 v[130:131], v[92:93], s[38:39]
	v_add_f64 v[126:127], v[126:127], v[134:135]
	v_mul_f64 v[134:135], v[94:95], s[28:29]
	s_mov_b32 s17, 0x3fddbe06
	v_add_f64 v[124:125], v[124:125], v[132:133]
	v_add_f64 v[128:129], v[128:129], v[136:137]
	v_fma_f64 v[132:133], s[22:23], v[100:101], v[130:131]
	v_fma_f64 v[130:131], v[100:101], s[22:23], -v[130:131]
	v_fma_f64 v[136:137], v[98:99], s[10:11], -v[134:135]
	v_fmac_f64_e32 v[134:135], s[10:11], v[98:99]
	v_mul_f64 v[94:95], v[94:95], s[16:17]
	v_add_f64 v[130:131], v[130:131], v[138:139]
	v_mul_f64 v[138:139], v[92:93], s[28:29]
	v_add_f64 v[134:135], v[134:135], v[142:143]
	v_fma_f64 v[142:143], v[98:99], s[14:15], -v[94:95]
	v_mul_f64 v[92:93], v[92:93], s[16:17]
	v_fmac_f64_e32 v[94:95], s[14:15], v[98:99]
	v_add_f64 v[136:137], v[136:137], v[144:145]
	v_fma_f64 v[144:145], s[14:15], v[100:101], v[92:93]
	v_add_f64 v[84:85], v[94:95], v[84:85]
	v_fma_f64 v[92:93], v[100:101], s[14:15], -v[92:93]
	v_add_f64 v[94:95], v[82:83], v[90:91]
	v_add_f64 v[82:83], v[82:83], -v[90:91]
	v_add_f64 v[86:87], v[92:93], v[86:87]
	v_add_f64 v[92:93], v[80:81], v[88:89]
	v_add_f64 v[80:81], v[80:81], -v[88:89]
	v_mul_f64 v[88:89], v[82:83], s[36:37]
	v_fma_f64 v[90:91], v[92:93], s[10:11], -v[88:89]
	v_mul_f64 v[98:99], v[80:81], s[36:37]
	v_fmac_f64_e32 v[88:89], s[10:11], v[92:93]
	v_add_f64 v[132:133], v[132:133], v[140:141]
	v_fma_f64 v[140:141], s[10:11], v[100:101], v[138:139]
	v_fma_f64 v[138:139], v[100:101], s[10:11], -v[138:139]
	v_fma_f64 v[100:101], s[10:11], v[94:95], v[98:99]
	v_add_f64 v[88:89], v[88:89], v[102:103]
	v_fma_f64 v[98:99], v[94:95], s[10:11], -v[98:99]
	v_mul_f64 v[102:103], v[82:83], s[34:35]
	v_add_f64 v[90:91], v[90:91], v[104:105]
	v_add_f64 v[98:99], v[98:99], v[106:107]
	v_fma_f64 v[104:105], v[92:93], s[30:31], -v[102:103]
	v_mul_f64 v[106:107], v[80:81], s[34:35]
	v_fmac_f64_e32 v[102:103], s[30:31], v[92:93]
	v_add_f64 v[100:101], v[100:101], v[110:111]
	v_fma_f64 v[110:111], s[30:31], v[94:95], v[106:107]
	v_add_f64 v[102:103], v[102:103], v[108:109]
	v_fma_f64 v[106:107], v[94:95], s[30:31], -v[106:107]
	v_mul_f64 v[108:109], v[82:83], s[40:41]
	v_add_f64 v[104:105], v[104:105], v[112:113]
	v_add_f64 v[106:107], v[106:107], v[114:115]
	v_fma_f64 v[112:113], v[92:93], s[18:19], -v[108:109]
	v_mul_f64 v[114:115], v[80:81], s[40:41]
	v_fmac_f64_e32 v[108:109], s[18:19], v[92:93]
	v_add_f64 v[110:111], v[110:111], v[116:117]
	;; [unrolled: 10-line block ×3, first 2 shown]
	v_fma_f64 v[124:125], s[14:15], v[94:95], v[122:123]
	v_add_f64 v[118:119], v[118:119], v[126:127]
	v_fma_f64 v[122:123], v[94:95], s[14:15], -v[122:123]
	v_mul_f64 v[126:127], v[82:83], s[26:27]
	v_add_f64 v[120:121], v[120:121], v[128:129]
	v_add_f64 v[122:123], v[122:123], v[130:131]
	v_fma_f64 v[128:129], v[92:93], s[12:13], -v[126:127]
	v_mul_f64 v[130:131], v[80:81], s[26:27]
	v_mul_f64 v[80:81], v[80:81], s[24:25]
	v_add_f64 v[128:129], v[128:129], v[136:137]
	v_fmac_f64_e32 v[126:127], s[12:13], v[92:93]
	v_mul_f64 v[82:83], v[82:83], s[24:25]
	v_fma_f64 v[136:137], s[22:23], v[94:95], v[80:81]
	v_fma_f64 v[80:81], v[94:95], s[22:23], -v[80:81]
	v_add_f64 v[126:127], v[126:127], v[134:135]
	v_fma_f64 v[134:135], v[92:93], s[22:23], -v[82:83]
	v_fmac_f64_e32 v[82:83], s[22:23], v[92:93]
	v_add_f64 v[80:81], v[80:81], v[86:87]
	v_add_f64 v[86:87], v[74:75], v[78:79]
	v_add_f64 v[74:75], v[74:75], -v[78:79]
	v_add_f64 v[82:83], v[82:83], v[84:85]
	v_add_f64 v[84:85], v[72:73], v[76:77]
	v_add_f64 v[72:73], v[72:73], -v[76:77]
	v_mul_f64 v[76:77], v[74:75], s[20:21]
	v_fma_f64 v[78:79], v[84:85], s[18:19], -v[76:77]
	v_add_f64 v[78:79], v[78:79], v[90:91]
	v_mul_f64 v[90:91], v[72:73], s[20:21]
	v_fmac_f64_e32 v[76:77], s[18:19], v[84:85]
	v_fma_f64 v[92:93], s[18:19], v[86:87], v[90:91]
	v_add_f64 v[76:77], v[76:77], v[88:89]
	v_fma_f64 v[88:89], v[86:87], s[18:19], -v[90:91]
	v_mul_f64 v[90:91], v[74:75], s[38:39]
	v_add_f64 v[124:125], v[124:125], v[132:133]
	v_fma_f64 v[132:133], s[12:13], v[94:95], v[130:131]
	v_fma_f64 v[130:131], v[94:95], s[12:13], -v[130:131]
	v_fma_f64 v[94:95], v[84:85], s[22:23], -v[90:91]
	v_fmac_f64_e32 v[90:91], s[22:23], v[84:85]
	v_add_f64 v[88:89], v[88:89], v[98:99]
	v_mul_f64 v[98:99], v[72:73], s[38:39]
	v_add_f64 v[90:91], v[90:91], v[102:103]
	v_mul_f64 v[102:103], v[74:75], s[16:17]
	v_add_f64 v[92:93], v[92:93], v[100:101]
	v_add_f64 v[94:95], v[94:95], v[104:105]
	v_fma_f64 v[100:101], s[22:23], v[86:87], v[98:99]
	v_fma_f64 v[98:99], v[86:87], s[22:23], -v[98:99]
	v_fma_f64 v[104:105], v[84:85], s[14:15], -v[102:103]
	v_fmac_f64_e32 v[102:103], s[14:15], v[84:85]
	v_add_f64 v[98:99], v[98:99], v[106:107]
	v_mul_f64 v[106:107], v[72:73], s[16:17]
	v_add_f64 v[102:103], v[102:103], v[108:109]
	v_mul_f64 v[108:109], v[74:75], s[36:37]
	v_add_f64 v[100:101], v[100:101], v[110:111]
	v_add_f64 v[104:105], v[104:105], v[112:113]
	v_fma_f64 v[110:111], s[14:15], v[86:87], v[106:107]
	v_fma_f64 v[106:107], v[86:87], s[14:15], -v[106:107]
	v_fma_f64 v[112:113], v[84:85], s[10:11], -v[108:109]
	v_fmac_f64_e32 v[108:109], s[10:11], v[84:85]
	s_mov_b32 s39, 0x3fcea1e5
	s_mov_b32 s38, s34
	v_add_f64 v[106:107], v[106:107], v[114:115]
	v_mul_f64 v[114:115], v[72:73], s[36:37]
	v_add_f64 v[108:109], v[108:109], v[118:119]
	v_mul_f64 v[118:119], v[74:75], s[38:39]
	s_mov_b32 s37, 0x3fea55e2
	s_mov_b32 s36, s26
	v_add_f64 v[110:111], v[110:111], v[116:117]
	v_add_f64 v[112:113], v[112:113], v[120:121]
	v_fma_f64 v[116:117], s[10:11], v[86:87], v[114:115]
	v_fma_f64 v[114:115], v[86:87], s[10:11], -v[114:115]
	v_fma_f64 v[120:121], v[84:85], s[30:31], -v[118:119]
	v_fmac_f64_e32 v[118:119], s[30:31], v[84:85]
	v_mul_f64 v[74:75], v[74:75], s[36:37]
	v_add_f64 v[114:115], v[114:115], v[122:123]
	v_mul_f64 v[122:123], v[72:73], s[38:39]
	v_add_f64 v[118:119], v[118:119], v[126:127]
	v_fma_f64 v[126:127], v[84:85], s[12:13], -v[74:75]
	v_mul_f64 v[72:73], v[72:73], s[36:37]
	v_fmac_f64_e32 v[74:75], s[12:13], v[84:85]
	v_add_f64 v[120:121], v[120:121], v[128:129]
	v_fma_f64 v[128:129], s[12:13], v[86:87], v[72:73]
	v_add_f64 v[74:75], v[74:75], v[82:83]
	v_fma_f64 v[72:73], v[86:87], s[12:13], -v[72:73]
	v_add_f64 v[82:83], v[66:67], v[70:71]
	v_add_f64 v[66:67], v[66:67], -v[70:71]
	v_add_f64 v[72:73], v[72:73], v[80:81]
	v_add_f64 v[80:81], v[64:65], v[68:69]
	v_add_f64 v[64:65], v[64:65], -v[68:69]
	v_mul_f64 v[68:69], v[66:67], s[24:25]
	v_fma_f64 v[70:71], v[80:81], s[22:23], -v[68:69]
	v_add_f64 v[70:71], v[70:71], v[78:79]
	v_mul_f64 v[78:79], v[64:65], s[24:25]
	v_fmac_f64_e32 v[68:69], s[22:23], v[80:81]
	v_add_f64 v[68:69], v[68:69], v[76:77]
	v_fma_f64 v[76:77], v[82:83], s[22:23], -v[78:79]
	v_fma_f64 v[84:85], s[22:23], v[82:83], v[78:79]
	v_add_f64 v[76:77], v[76:77], v[88:89]
	v_mul_f64 v[78:79], v[66:67], s[28:29]
	v_mul_f64 v[88:89], v[64:65], s[28:29]
	v_add_f64 v[116:117], v[116:117], v[124:125]
	v_fma_f64 v[124:125], s[30:31], v[86:87], v[122:123]
	v_fma_f64 v[122:123], v[86:87], s[30:31], -v[122:123]
	v_add_f64 v[84:85], v[84:85], v[92:93]
	v_fma_f64 v[86:87], v[80:81], s[10:11], -v[78:79]
	v_fma_f64 v[92:93], s[10:11], v[82:83], v[88:89]
	v_fmac_f64_e32 v[78:79], s[10:11], v[80:81]
	v_fma_f64 v[88:89], v[82:83], s[10:11], -v[88:89]
	v_add_f64 v[78:79], v[78:79], v[90:91]
	v_add_f64 v[88:89], v[88:89], v[98:99]
	v_mul_f64 v[90:91], v[66:67], s[26:27]
	v_mul_f64 v[98:99], v[64:65], s[26:27]
	v_add_f64 v[86:87], v[86:87], v[94:95]
	v_add_f64 v[92:93], v[92:93], v[100:101]
	v_fma_f64 v[94:95], v[80:81], s[12:13], -v[90:91]
	v_fma_f64 v[100:101], s[12:13], v[82:83], v[98:99]
	v_add_f64 v[94:95], v[94:95], v[104:105]
	v_add_f64 v[104:105], v[100:101], v[110:111]
	v_fmac_f64_e32 v[90:91], s[12:13], v[80:81]
	v_mul_f64 v[100:101], v[66:67], s[38:39]
	v_add_f64 v[90:91], v[90:91], v[102:103]
	v_fma_f64 v[98:99], v[82:83], s[12:13], -v[98:99]
	v_fma_f64 v[102:103], v[80:81], s[30:31], -v[100:101]
	v_add_f64 v[98:99], v[98:99], v[106:107]
	v_add_f64 v[106:107], v[102:103], v[112:113]
	v_mul_f64 v[102:103], v[64:65], s[38:39]
	v_fmac_f64_e32 v[100:101], s[30:31], v[80:81]
	v_add_f64 v[108:109], v[100:101], v[108:109]
	v_fma_f64 v[100:101], v[82:83], s[30:31], -v[102:103]
	v_add_f64 v[112:113], v[100:101], v[114:115]
	v_mul_f64 v[100:101], v[66:67], s[16:17]
	v_add_f64 v[138:139], v[138:139], v[146:147]
	v_add_f64 v[144:145], v[144:145], v[152:153]
	v_fma_f64 v[110:111], s[30:31], v[82:83], v[102:103]
	v_fma_f64 v[102:103], v[80:81], s[14:15], -v[100:101]
	v_add_f64 v[142:143], v[142:143], v[150:151]
	v_add_f64 v[130:131], v[130:131], v[138:139]
	;; [unrolled: 1-line block ×4, first 2 shown]
	v_mul_f64 v[102:103], v[64:65], s[16:17]
	v_fmac_f64_e32 v[100:101], s[14:15], v[80:81]
	v_add_f64 v[140:141], v[140:141], v[148:149]
	v_add_f64 v[134:135], v[134:135], v[142:143]
	;; [unrolled: 1-line block ×5, first 2 shown]
	v_fma_f64 v[100:101], v[82:83], s[14:15], -v[102:103]
	v_mul_f64 v[66:67], v[66:67], s[20:21]
	v_add_f64 v[136:137], v[58:59], -v[62:63]
	v_add_f64 v[132:133], v[132:133], v[140:141]
	v_add_f64 v[126:127], v[126:127], v[134:135]
	v_add_f64 v[120:121], v[100:101], v[122:123]
	v_fma_f64 v[100:101], v[80:81], s[18:19], -v[66:67]
	v_mul_f64 v[64:65], v[64:65], s[20:21]
	v_fmac_f64_e32 v[66:67], s[18:19], v[80:81]
	v_add_f64 v[130:131], v[56:57], v[60:61]
	v_add_f64 v[134:135], v[56:57], -v[60:61]
	v_mul_f64 v[60:61], v[136:137], s[34:35]
	v_add_f64 v[124:125], v[124:125], v[132:133]
	v_add_f64 v[110:111], v[110:111], v[116:117]
	v_fma_f64 v[116:117], s[14:15], v[82:83], v[102:103]
	v_add_f64 v[122:123], v[100:101], v[126:127]
	v_fma_f64 v[100:101], s[18:19], v[82:83], v[64:65]
	v_add_f64 v[126:127], v[66:67], v[74:75]
	v_add_f64 v[132:133], v[58:59], v[62:63]
	v_fma_f64 v[56:57], v[130:131], s[30:31], -v[60:61]
	v_mul_f64 v[62:63], v[134:135], s[34:35]
	v_fmac_f64_e32 v[60:61], s[30:31], v[130:131]
	v_mul_f64 v[74:75], v[134:135], s[24:25]
	v_add_f64 v[116:117], v[116:117], v[124:125]
	v_add_f64 v[124:125], v[100:101], v[128:129]
	v_fma_f64 v[64:65], v[82:83], s[18:19], -v[64:65]
	v_add_f64 v[56:57], v[56:57], v[70:71]
	v_add_f64 v[100:101], v[60:61], v[68:69]
	v_fma_f64 v[60:61], v[132:133], s[30:31], -v[62:63]
	v_mul_f64 v[66:67], v[134:135], s[16:17]
	v_fma_f64 v[70:71], s[22:23], v[132:133], v[74:75]
	v_fma_f64 v[74:75], v[132:133], s[22:23], -v[74:75]
	v_mul_f64 v[80:81], v[136:137], s[36:37]
	v_add_f64 v[128:129], v[64:65], v[72:73]
	v_fma_f64 v[58:59], s[30:31], v[132:133], v[62:63]
	v_add_f64 v[102:103], v[60:61], v[76:77]
	v_fma_f64 v[62:63], s[14:15], v[132:133], v[66:67]
	v_mul_f64 v[72:73], v[136:137], s[24:25]
	v_add_f64 v[74:75], v[74:75], v[98:99]
	v_fma_f64 v[76:77], v[130:131], s[12:13], -v[80:81]
	v_mul_f64 v[98:99], v[136:137], s[28:29]
	v_mul_f64 v[64:65], v[136:137], s[16:17]
	v_add_f64 v[62:63], v[62:63], v[92:93]
	v_fma_f64 v[66:67], v[132:133], s[14:15], -v[66:67]
	v_fma_f64 v[68:69], v[130:131], s[22:23], -v[72:73]
	v_fmac_f64_e32 v[72:73], s[22:23], v[130:131]
	v_add_f64 v[76:77], v[76:77], v[106:107]
	v_fma_f64 v[92:93], v[130:131], s[10:11], -v[98:99]
	v_mul_f64 v[106:107], v[134:135], s[28:29]
	v_fmac_f64_e32 v[98:99], s[10:11], v[130:131]
	v_fma_f64 v[60:61], v[130:131], s[14:15], -v[64:65]
	v_fmac_f64_e32 v[64:65], s[14:15], v[130:131]
	v_add_f64 v[66:67], v[66:67], v[88:89]
	v_add_f64 v[70:71], v[70:71], v[104:105]
	;; [unrolled: 1-line block ×3, first 2 shown]
	v_mul_f64 v[82:83], v[134:135], s[36:37]
	v_mul_f64 v[88:89], v[136:137], s[20:21]
	;; [unrolled: 1-line block ×3, first 2 shown]
	v_add_f64 v[104:105], v[98:99], v[126:127]
	v_fma_f64 v[98:99], v[132:133], s[10:11], -v[106:107]
	v_add_f64 v[58:59], v[58:59], v[84:85]
	v_add_f64 v[60:61], v[60:61], v[86:87]
	;; [unrolled: 1-line block ×4, first 2 shown]
	v_fma_f64 v[78:79], s[12:13], v[132:133], v[82:83]
	v_fmac_f64_e32 v[80:81], s[12:13], v[130:131]
	v_fma_f64 v[82:83], v[132:133], s[12:13], -v[82:83]
	v_fma_f64 v[84:85], v[130:131], s[18:19], -v[88:89]
	v_fma_f64 v[86:87], s[18:19], v[132:133], v[90:91]
	v_fmac_f64_e32 v[88:89], s[18:19], v[130:131]
	v_fma_f64 v[90:91], v[132:133], s[18:19], -v[90:91]
	v_fma_f64 v[94:95], s[10:11], v[132:133], v[106:107]
	v_add_f64 v[106:107], v[98:99], v[128:129]
	v_add_f64 v[78:79], v[78:79], v[110:111]
	;; [unrolled: 1-line block ×10, first 2 shown]
	s_waitcnt lgkmcnt(0)
	; wave barrier
	ds_write_b128 v173, v[52:55]
	ds_write_b128 v173, v[56:59] offset:16
	ds_write_b128 v173, v[60:63] offset:32
	;; [unrolled: 1-line block ×12, first 2 shown]
	s_waitcnt lgkmcnt(0)
	; wave barrier
	s_waitcnt lgkmcnt(0)
	ds_read_b128 v[112:115], v171
	ds_read_b128 v[108:111], v170 offset:64
	ds_read_b128 v[144:147], v170 offset:416
	;; [unrolled: 1-line block ×11, first 2 shown]
                                        ; implicit-def: $vgpr124_vgpr125
                                        ; implicit-def: $vgpr120_vgpr121
                                        ; implicit-def: $vgpr116_vgpr117
	s_and_saveexec_b64 s[10:11], vcc
	s_cbranch_execz .LBB0_3
; %bb.2:
	ds_read_b128 v[100:103], v172 offset:192
	ds_read_b128 v[116:119], v172 offset:400
	;; [unrolled: 1-line block ×4, first 2 shown]
.LBB0_3:
	s_or_b64 exec, exec, s[10:11]
	v_mad_u64_u32 v[52:53], s[10:11], v165, 48, s[6:7]
	global_load_dwordx4 v[72:75], v[52:53], off
	global_load_dwordx4 v[68:71], v[52:53], off offset:16
	global_load_dwordx4 v[64:67], v[52:53], off offset:32
	;; [unrolled: 1-line block ×8, first 2 shown]
	v_mad_u64_u32 v[52:53], s[10:11], v165, 3, -3
	v_cndmask_b32_e64 v53, v53, 0, vcc
	v_cndmask_b32_e64 v52, v52, 36, vcc
	v_lshl_add_u64 v[52:53], v[52:53], 4, s[6:7]
	global_load_dwordx4 v[56:59], v[52:53], off
	global_load_dwordx4 v[60:63], v[52:53], off offset:16
	s_nop 0
	global_load_dwordx4 v[52:55], v[52:53], off offset:32
	v_lshl_add_u64 v[168:169], s[4:5], 0, v[166:167]
	s_waitcnt vmcnt(11) lgkmcnt(7)
	v_mul_f64 v[174:175], v[158:159], v[74:75]
	v_mul_f64 v[176:177], v[156:157], v[74:75]
	s_waitcnt vmcnt(10)
	v_mul_f64 v[178:179], v[146:147], v[70:71]
	v_mul_f64 v[180:181], v[144:145], v[70:71]
	s_waitcnt vmcnt(9) lgkmcnt(3)
	v_mul_f64 v[182:183], v[162:163], v[66:67]
	v_mul_f64 v[184:185], v[160:161], v[66:67]
	s_waitcnt vmcnt(8)
	v_mul_f64 v[188:189], v[148:149], v[86:87]
	s_waitcnt vmcnt(6) lgkmcnt(1)
	v_mul_f64 v[194:195], v[154:155], v[78:79]
	v_mul_f64 v[196:197], v[152:153], v[78:79]
	s_waitcnt vmcnt(5)
	v_mul_f64 v[198:199], v[134:135], v[98:99]
	s_waitcnt vmcnt(4)
	v_mul_f64 v[202:203], v[138:139], v[94:95]
	v_mul_f64 v[204:205], v[136:137], v[94:95]
	s_waitcnt vmcnt(3) lgkmcnt(0)
	v_mul_f64 v[206:207], v[142:143], v[90:91]
	v_mul_f64 v[208:209], v[140:141], v[90:91]
	v_fma_f64 v[156:157], v[156:157], v[72:73], -v[174:175]
	v_fmac_f64_e32 v[176:177], v[158:159], v[72:73]
	v_fma_f64 v[144:145], v[144:145], v[68:69], -v[178:179]
	v_fmac_f64_e32 v[180:181], v[146:147], v[68:69]
	;; [unrolled: 2-line block ×3, first 2 shown]
	v_mul_f64 v[186:187], v[150:151], v[86:87]
	v_mul_f64 v[200:201], v[132:133], v[98:99]
	v_fmac_f64_e32 v[188:189], v[150:151], v[84:85]
	v_fma_f64 v[150:151], v[152:153], v[76:77], -v[194:195]
	v_fmac_f64_e32 v[196:197], v[154:155], v[76:77]
	v_fma_f64 v[152:153], v[132:133], v[96:97], -v[198:199]
	v_fma_f64 v[154:155], v[136:137], v[92:93], -v[202:203]
	v_fmac_f64_e32 v[204:205], v[138:139], v[92:93]
	v_fma_f64 v[158:159], v[140:141], v[88:89], -v[206:207]
	v_fmac_f64_e32 v[208:209], v[142:143], v[88:89]
	s_waitcnt vmcnt(1)
	v_mul_f64 v[132:133], v[122:123], v[62:63]
	v_mul_f64 v[178:179], v[120:121], v[62:63]
	v_add_f64 v[136:137], v[112:113], -v[144:145]
	v_add_f64 v[138:139], v[114:115], -v[180:181]
	v_add_f64 v[140:141], v[156:157], -v[146:147]
	v_add_f64 v[142:143], v[176:177], -v[184:185]
	v_mul_f64 v[190:191], v[130:131], v[82:83]
	v_mul_f64 v[192:193], v[128:129], v[82:83]
	v_fma_f64 v[184:185], v[120:121], v[60:61], -v[132:133]
	v_fmac_f64_e32 v[178:179], v[122:123], v[60:61]
	v_fma_f64 v[112:113], v[112:113], 2.0, -v[136:137]
	v_fma_f64 v[114:115], v[114:115], 2.0, -v[138:139]
	v_fma_f64 v[120:121], v[156:157], 2.0, -v[140:141]
	v_fma_f64 v[122:123], v[176:177], 2.0, -v[142:143]
	v_fma_f64 v[148:149], v[148:149], v[84:85], -v[186:187]
	v_fma_f64 v[128:129], v[128:129], v[80:81], -v[190:191]
	v_fmac_f64_e32 v[192:193], v[130:131], v[80:81]
	v_mul_f64 v[130:131], v[118:119], v[58:59]
	v_add_f64 v[120:121], v[112:113], -v[120:121]
	v_add_f64 v[122:123], v[114:115], -v[122:123]
	v_fmac_f64_e32 v[200:201], v[134:135], v[96:97]
	s_waitcnt vmcnt(0)
	v_mul_f64 v[134:135], v[126:127], v[54:55]
	v_add_f64 v[144:145], v[108:109], -v[128:129]
	v_add_f64 v[146:147], v[110:111], -v[192:193]
	v_fma_f64 v[180:181], v[116:117], v[56:57], -v[130:131]
	v_fma_f64 v[128:129], v[112:113], 2.0, -v[120:121]
	v_fma_f64 v[130:131], v[114:115], 2.0, -v[122:123]
	v_add_f64 v[112:113], v[148:149], -v[150:151]
	v_add_f64 v[114:115], v[188:189], -v[196:197]
	v_mul_f64 v[174:175], v[116:117], v[58:59]
	v_fma_f64 v[186:187], v[124:125], v[52:53], -v[134:135]
	v_fma_f64 v[108:109], v[108:109], 2.0, -v[144:145]
	v_fma_f64 v[110:111], v[110:111], 2.0, -v[146:147]
	;; [unrolled: 1-line block ×4, first 2 shown]
	v_mul_f64 v[182:183], v[124:125], v[54:55]
	v_fmac_f64_e32 v[174:175], v[118:119], v[56:57]
	v_add_f64 v[116:117], v[136:137], -v[142:143]
	v_add_f64 v[118:119], v[138:139], v[140:141]
	v_add_f64 v[132:133], v[108:109], -v[132:133]
	v_add_f64 v[134:135], v[110:111], -v[134:135]
	v_fmac_f64_e32 v[182:183], v[126:127], v[52:53]
	v_fma_f64 v[124:125], v[136:137], 2.0, -v[116:117]
	v_fma_f64 v[126:127], v[138:139], 2.0, -v[118:119]
	v_fma_f64 v[136:137], v[108:109], 2.0, -v[132:133]
	v_fma_f64 v[138:139], v[110:111], 2.0, -v[134:135]
	v_add_f64 v[140:141], v[144:145], -v[114:115]
	v_add_f64 v[142:143], v[146:147], v[112:113]
	v_add_f64 v[108:109], v[104:105], -v[154:155]
	v_add_f64 v[110:111], v[106:107], -v[204:205]
	;; [unrolled: 1-line block ×4, first 2 shown]
	v_fma_f64 v[104:105], v[104:105], 2.0, -v[108:109]
	v_fma_f64 v[106:107], v[106:107], 2.0, -v[110:111]
	;; [unrolled: 1-line block ×4, first 2 shown]
	v_add_f64 v[176:177], v[100:101], -v[184:185]
	v_add_f64 v[178:179], v[102:103], -v[178:179]
	;; [unrolled: 1-line block ×5, first 2 shown]
	v_add_f64 v[158:159], v[110:111], v[112:113]
	v_fma_f64 v[112:113], v[100:101], 2.0, -v[176:177]
	v_fma_f64 v[114:115], v[102:103], 2.0, -v[178:179]
	v_add_f64 v[100:101], v[180:181], -v[186:187]
	v_add_f64 v[102:103], v[174:175], -v[182:183]
	v_fma_f64 v[152:153], v[104:105], 2.0, -v[148:149]
	v_fma_f64 v[154:155], v[106:107], 2.0, -v[150:151]
	v_fma_f64 v[160:161], v[108:109], 2.0, -v[156:157]
	v_fma_f64 v[162:163], v[110:111], 2.0, -v[158:159]
	v_fma_f64 v[104:105], v[180:181], 2.0, -v[100:101]
	v_fma_f64 v[106:107], v[174:175], 2.0, -v[102:103]
	v_add_f64 v[108:109], v[176:177], -v[102:103]
	v_add_f64 v[110:111], v[178:179], v[100:101]
	v_add_f64 v[104:105], v[112:113], -v[104:105]
	v_add_f64 v[106:107], v[114:115], -v[106:107]
	v_fma_f64 v[100:101], v[176:177], 2.0, -v[108:109]
	v_fma_f64 v[102:103], v[178:179], 2.0, -v[110:111]
	;; [unrolled: 1-line block ×4, first 2 shown]
	ds_write_b128 v171, v[128:131]
	ds_write_b128 v170, v[124:127] offset:208
	ds_write_b128 v170, v[120:123] offset:416
	;; [unrolled: 1-line block ×11, first 2 shown]
	s_and_saveexec_b64 s[6:7], vcc
	s_cbranch_execz .LBB0_5
; %bb.4:
	v_fma_f64 v[114:115], v[114:115], 2.0, -v[106:107]
	v_fma_f64 v[112:113], v[112:113], 2.0, -v[104:105]
	ds_write_b128 v172, v[112:115] offset:192
	ds_write_b128 v172, v[100:103] offset:400
	;; [unrolled: 1-line block ×4, first 2 shown]
.LBB0_5:
	s_or_b64 exec, exec, s[6:7]
	s_waitcnt lgkmcnt(0)
	; wave barrier
	s_waitcnt lgkmcnt(0)
	global_load_dwordx4 v[116:119], v[168:169], off offset:832
	s_add_u32 s4, s4, 0x340
	s_addc_u32 s5, s5, 0
	global_load_dwordx4 v[112:115], v166, s[4:5] offset:64
	global_load_dwordx4 v[120:123], v166, s[4:5] offset:128
	;; [unrolled: 1-line block ×12, first 2 shown]
	ds_read_b128 v[174:177], v171
	v_add_u32_e32 v166, v172, v166
	s_mov_b32 s18, 0x4267c47c
	s_mov_b32 s12, 0x42a4c3d2
	;; [unrolled: 1-line block ×36, first 2 shown]
	s_waitcnt vmcnt(12) lgkmcnt(0)
	v_mul_f64 v[168:169], v[176:177], v[118:119]
	v_mul_f64 v[180:181], v[174:175], v[118:119]
	v_fma_f64 v[178:179], v[174:175], v[116:117], -v[168:169]
	v_fmac_f64_e32 v[180:181], v[176:177], v[116:117]
	ds_write_b128 v171, v[178:181]
	ds_read_b128 v[116:119], v170 offset:64
	ds_read_b128 v[174:177], v170 offset:128
	;; [unrolled: 1-line block ×12, first 2 shown]
	s_waitcnt vmcnt(11) lgkmcnt(11)
	v_mul_f64 v[168:169], v[118:119], v[114:115]
	v_mul_f64 v[220:221], v[116:117], v[114:115]
	s_waitcnt vmcnt(10) lgkmcnt(10)
	v_mul_f64 v[222:223], v[176:177], v[122:123]
	v_mul_f64 v[114:115], v[174:175], v[122:123]
	;; [unrolled: 3-line block ×3, first 2 shown]
	s_waitcnt vmcnt(8)
	v_mul_f64 v[226:227], v[180:181], v[130:131]
	v_mul_f64 v[126:127], v[178:179], v[130:131]
	s_waitcnt vmcnt(7)
	v_mul_f64 v[228:229], v[184:185], v[134:135]
	v_mul_f64 v[130:131], v[182:183], v[134:135]
	;; [unrolled: 3-line block ×8, first 2 shown]
	v_fma_f64 v[218:219], v[116:117], v[112:113], -v[168:169]
	v_fmac_f64_e32 v[220:221], v[118:119], v[112:113]
	v_fma_f64 v[112:113], v[174:175], v[120:121], -v[222:223]
	v_fmac_f64_e32 v[114:115], v[176:177], v[120:121]
	;; [unrolled: 2-line block ×11, first 2 shown]
	ds_write_b128 v170, v[218:221] offset:64
	ds_write_b128 v170, v[112:115] offset:128
	;; [unrolled: 1-line block ×11, first 2 shown]
	s_waitcnt vmcnt(0) lgkmcnt(11)
	v_mul_f64 v[112:113], v[216:217], v[162:163]
	v_mul_f64 v[114:115], v[214:215], v[162:163]
	v_fma_f64 v[112:113], v[214:215], v[160:161], -v[112:113]
	v_fmac_f64_e32 v[114:115], v[216:217], v[160:161]
	ds_write_b128 v170, v[112:115] offset:768
	s_waitcnt lgkmcnt(0)
	; wave barrier
	s_waitcnt lgkmcnt(0)
	ds_read_b128 v[144:147], v171
	ds_read_b128 v[156:159], v170 offset:64
	ds_read_b128 v[140:143], v166 offset:192
	;; [unrolled: 1-line block ×12, first 2 shown]
	s_waitcnt lgkmcnt(11)
	v_add_f64 v[116:117], v[144:145], v[156:157]
	v_add_f64 v[118:119], v[146:147], v[158:159]
	s_waitcnt lgkmcnt(9)
	v_add_f64 v[116:117], v[116:117], v[152:153]
	v_add_f64 v[118:119], v[118:119], v[154:155]
	;; [unrolled: 1-line block ×4, first 2 shown]
	s_waitcnt lgkmcnt(8)
	v_add_f64 v[116:117], v[116:117], v[132:133]
	v_add_f64 v[118:119], v[118:119], v[134:135]
	s_waitcnt lgkmcnt(7)
	v_add_f64 v[116:117], v[116:117], v[124:125]
	v_add_f64 v[118:119], v[118:119], v[126:127]
	;; [unrolled: 3-line block ×7, first 2 shown]
	s_waitcnt lgkmcnt(1)
	v_add_f64 v[116:117], v[116:117], v[160:161]
	s_waitcnt lgkmcnt(0)
	v_add_f64 v[178:179], v[158:159], v[176:177]
	v_add_f64 v[158:159], v[158:159], -v[176:177]
	v_add_f64 v[118:119], v[118:119], v[162:163]
	v_add_f64 v[116:117], v[116:117], v[174:175]
	;; [unrolled: 1-line block ×3, first 2 shown]
	v_add_f64 v[156:157], v[156:157], -v[174:175]
	v_mul_f64 v[174:175], v[158:159], s[18:19]
	v_mul_f64 v[184:185], v[158:159], s[12:13]
	;; [unrolled: 1-line block ×6, first 2 shown]
	v_add_f64 v[118:119], v[118:119], v[176:177]
	v_fma_f64 v[176:177], s[20:21], v[168:169], v[174:175]
	v_fma_f64 v[174:175], v[168:169], s[20:21], -v[174:175]
	v_fma_f64 v[186:187], s[14:15], v[168:169], v[184:185]
	v_fma_f64 v[184:185], v[168:169], s[14:15], -v[184:185]
	;; [unrolled: 2-line block ×6, first 2 shown]
	v_add_f64 v[176:177], v[144:145], v[176:177]
	v_mul_f64 v[180:181], v[178:179], s[20:21]
	v_add_f64 v[174:175], v[144:145], v[174:175]
	v_add_f64 v[186:187], v[144:145], v[186:187]
	v_mul_f64 v[188:189], v[178:179], s[14:15]
	v_add_f64 v[184:185], v[144:145], v[184:185]
	;; [unrolled: 3-line block ×6, first 2 shown]
	v_add_f64 v[158:159], v[154:155], v[162:163]
	v_add_f64 v[154:155], v[154:155], -v[162:163]
	v_fma_f64 v[182:183], s[22:23], v[156:157], v[180:181]
	v_fmac_f64_e32 v[180:181], s[18:19], v[156:157]
	v_fma_f64 v[190:191], s[16:17], v[156:157], v[188:189]
	v_fmac_f64_e32 v[188:189], s[12:13], v[156:157]
	;; [unrolled: 2-line block ×6, first 2 shown]
	v_add_f64 v[156:157], v[152:153], v[160:161]
	v_add_f64 v[152:153], v[152:153], -v[160:161]
	v_mul_f64 v[160:161], v[154:155], s[12:13]
	v_fma_f64 v[162:163], s[14:15], v[156:157], v[160:161]
	v_fma_f64 v[160:161], v[156:157], s[14:15], -v[160:161]
	v_add_f64 v[160:161], v[160:161], v[174:175]
	v_mul_f64 v[174:175], v[154:155], s[24:25]
	v_add_f64 v[182:183], v[146:147], v[182:183]
	v_add_f64 v[180:181], v[146:147], v[180:181]
	v_add_f64 v[190:191], v[146:147], v[190:191]
	v_add_f64 v[188:189], v[146:147], v[188:189]
	v_add_f64 v[198:199], v[146:147], v[198:199]
	v_add_f64 v[196:197], v[146:147], v[196:197]
	v_add_f64 v[206:207], v[146:147], v[206:207]
	v_add_f64 v[204:205], v[146:147], v[204:205]
	v_add_f64 v[214:215], v[146:147], v[214:215]
	v_add_f64 v[212:213], v[146:147], v[212:213]
	v_add_f64 v[218:219], v[146:147], v[218:219]
	v_add_f64 v[146:147], v[146:147], v[178:179]
	v_mul_f64 v[168:169], v[158:159], s[14:15]
	v_fma_f64 v[178:179], s[26:27], v[156:157], v[174:175]
	v_fma_f64 v[174:175], v[156:157], s[26:27], -v[174:175]
	v_add_f64 v[162:163], v[162:163], v[176:177]
	v_fma_f64 v[176:177], s[16:17], v[152:153], v[168:169]
	v_fmac_f64_e32 v[168:169], s[12:13], v[152:153]
	v_add_f64 v[174:175], v[174:175], v[184:185]
	v_mul_f64 v[184:185], v[154:155], s[38:39]
	v_add_f64 v[168:169], v[168:169], v[180:181]
	v_add_f64 v[178:179], v[178:179], v[186:187]
	v_mul_f64 v[180:181], v[158:159], s[26:27]
	v_fma_f64 v[186:187], s[40:41], v[156:157], v[184:185]
	v_fma_f64 v[184:185], v[156:157], s[40:41], -v[184:185]
	v_add_f64 v[176:177], v[176:177], v[182:183]
	v_fma_f64 v[182:183], s[28:29], v[152:153], v[180:181]
	v_fmac_f64_e32 v[180:181], s[24:25], v[152:153]
	v_add_f64 v[184:185], v[184:185], v[192:193]
	v_mul_f64 v[192:193], v[154:155], s[36:37]
	v_add_f64 v[180:181], v[180:181], v[188:189]
	v_add_f64 v[186:187], v[186:187], v[194:195]
	;; [unrolled: 10-line block ×3, first 2 shown]
	v_mul_f64 v[196:197], v[158:159], s[34:35]
	v_fma_f64 v[202:203], s[6:7], v[156:157], v[200:201]
	v_fma_f64 v[200:201], v[156:157], s[6:7], -v[200:201]
	v_mul_f64 v[154:155], v[154:155], s[22:23]
	v_add_f64 v[190:191], v[190:191], v[198:199]
	v_fma_f64 v[198:199], s[30:31], v[152:153], v[196:197]
	v_fmac_f64_e32 v[196:197], s[36:37], v[152:153]
	v_add_f64 v[200:201], v[200:201], v[208:209]
	v_fma_f64 v[208:209], s[20:21], v[156:157], v[154:155]
	v_fma_f64 v[154:155], v[156:157], s[20:21], -v[154:155]
	v_add_f64 v[196:197], v[196:197], v[204:205]
	v_mul_f64 v[204:205], v[158:159], s[6:7]
	v_mul_f64 v[158:159], v[158:159], s[20:21]
	v_add_f64 v[144:145], v[154:155], v[144:145]
	v_add_f64 v[154:155], v[142:143], v[150:151]
	v_add_f64 v[142:143], v[142:143], -v[150:151]
	v_add_f64 v[198:199], v[198:199], v[206:207]
	v_add_f64 v[202:203], v[202:203], v[210:211]
	v_fma_f64 v[206:207], s[4:5], v[152:153], v[204:205]
	v_fmac_f64_e32 v[204:205], s[10:11], v[152:153]
	v_fma_f64 v[210:211], s[18:19], v[152:153], v[158:159]
	v_fmac_f64_e32 v[158:159], s[22:23], v[152:153]
	v_add_f64 v[152:153], v[140:141], v[148:149]
	v_add_f64 v[140:141], v[140:141], -v[148:149]
	v_mul_f64 v[148:149], v[142:143], s[4:5]
	v_fma_f64 v[150:151], s[6:7], v[152:153], v[148:149]
	v_mul_f64 v[156:157], v[154:155], s[6:7]
	v_fma_f64 v[148:149], v[152:153], s[6:7], -v[148:149]
	v_add_f64 v[146:147], v[158:159], v[146:147]
	v_fma_f64 v[158:159], s[10:11], v[140:141], v[156:157]
	v_add_f64 v[148:149], v[148:149], v[160:161]
	v_fmac_f64_e32 v[156:157], s[4:5], v[140:141]
	v_mul_f64 v[160:161], v[142:143], s[38:39]
	v_add_f64 v[150:151], v[150:151], v[162:163]
	v_add_f64 v[156:157], v[156:157], v[168:169]
	v_fma_f64 v[162:163], s[40:41], v[152:153], v[160:161]
	v_mul_f64 v[168:169], v[154:155], s[40:41]
	v_fma_f64 v[160:161], v[152:153], s[40:41], -v[160:161]
	v_add_f64 v[158:159], v[158:159], v[176:177]
	v_fma_f64 v[176:177], s[42:43], v[140:141], v[168:169]
	v_add_f64 v[160:161], v[160:161], v[174:175]
	v_fmac_f64_e32 v[168:169], s[38:39], v[140:141]
	v_mul_f64 v[174:175], v[142:143], s[28:29]
	v_add_f64 v[162:163], v[162:163], v[178:179]
	v_add_f64 v[168:169], v[168:169], v[180:181]
	;; [unrolled: 10-line block ×4, first 2 shown]
	v_fma_f64 v[194:195], s[14:15], v[152:153], v[192:193]
	v_mul_f64 v[196:197], v[154:155], s[14:15]
	v_mul_f64 v[154:155], v[154:155], s[34:35]
	v_add_f64 v[194:195], v[194:195], v[202:203]
	v_fma_f64 v[192:193], v[152:153], s[14:15], -v[192:193]
	v_mul_f64 v[142:143], v[142:143], s[30:31]
	v_fma_f64 v[202:203], s[36:37], v[140:141], v[154:155]
	v_fmac_f64_e32 v[154:155], s[30:31], v[140:141]
	v_add_f64 v[190:191], v[190:191], v[198:199]
	v_fma_f64 v[198:199], s[16:17], v[140:141], v[196:197]
	v_add_f64 v[192:193], v[192:193], v[200:201]
	v_fmac_f64_e32 v[196:197], s[12:13], v[140:141]
	v_fma_f64 v[200:201], s[34:35], v[152:153], v[142:143]
	v_fma_f64 v[142:143], v[152:153], s[34:35], -v[142:143]
	v_add_f64 v[140:141], v[154:155], v[146:147]
	v_add_f64 v[146:147], v[134:135], v[138:139]
	v_add_f64 v[134:135], v[134:135], -v[138:139]
	v_add_f64 v[142:143], v[142:143], v[144:145]
	v_add_f64 v[144:145], v[132:133], v[136:137]
	v_add_f64 v[132:133], v[132:133], -v[136:137]
	v_mul_f64 v[136:137], v[134:135], s[24:25]
	v_fma_f64 v[138:139], s[26:27], v[144:145], v[136:137]
	v_add_f64 v[138:139], v[138:139], v[150:151]
	v_mul_f64 v[150:151], v[146:147], s[26:27]
	v_fma_f64 v[152:153], s[28:29], v[132:133], v[150:151]
	v_fma_f64 v[136:137], v[144:145], s[26:27], -v[136:137]
	v_fmac_f64_e32 v[150:151], s[24:25], v[132:133]
	v_add_f64 v[136:137], v[136:137], v[148:149]
	v_add_f64 v[148:149], v[150:151], v[156:157]
	v_mul_f64 v[150:151], v[134:135], s[36:37]
	v_fma_f64 v[154:155], s[34:35], v[144:145], v[150:151]
	v_fma_f64 v[150:151], v[144:145], s[34:35], -v[150:151]
	v_mul_f64 v[156:157], v[146:147], s[34:35]
	v_add_f64 v[150:151], v[150:151], v[160:161]
	v_mul_f64 v[160:161], v[134:135], s[22:23]
	v_add_f64 v[152:153], v[152:153], v[158:159]
	v_add_f64 v[154:155], v[154:155], v[162:163]
	v_fma_f64 v[158:159], s[30:31], v[132:133], v[156:157]
	v_fmac_f64_e32 v[156:157], s[36:37], v[132:133]
	v_fma_f64 v[162:163], s[20:21], v[144:145], v[160:161]
	v_fma_f64 v[160:161], v[144:145], s[20:21], -v[160:161]
	v_add_f64 v[156:157], v[156:157], v[168:169]
	v_mul_f64 v[168:169], v[146:147], s[20:21]
	v_add_f64 v[160:161], v[160:161], v[174:175]
	v_mul_f64 v[174:175], v[134:135], s[4:5]
	v_add_f64 v[158:159], v[158:159], v[176:177]
	v_add_f64 v[162:163], v[162:163], v[178:179]
	v_fma_f64 v[176:177], s[18:19], v[132:133], v[168:169]
	v_fmac_f64_e32 v[168:169], s[22:23], v[132:133]
	v_fma_f64 v[178:179], s[6:7], v[144:145], v[174:175]
	v_fma_f64 v[174:175], v[144:145], s[6:7], -v[174:175]
	v_add_f64 v[168:169], v[168:169], v[180:181]
	v_mul_f64 v[180:181], v[146:147], s[6:7]
	v_add_f64 v[174:175], v[174:175], v[184:185]
	v_mul_f64 v[184:185], v[134:135], s[42:43]
	v_add_f64 v[176:177], v[176:177], v[182:183]
	v_add_f64 v[178:179], v[178:179], v[186:187]
	v_fma_f64 v[182:183], s[10:11], v[132:133], v[180:181]
	v_fmac_f64_e32 v[180:181], s[4:5], v[132:133]
	v_fma_f64 v[186:187], s[40:41], v[144:145], v[184:185]
	v_fma_f64 v[184:185], v[144:145], s[40:41], -v[184:185]
	v_mul_f64 v[134:135], v[134:135], s[16:17]
	v_add_f64 v[180:181], v[180:181], v[188:189]
	v_mul_f64 v[188:189], v[146:147], s[40:41]
	v_add_f64 v[184:185], v[184:185], v[192:193]
	v_fma_f64 v[192:193], s[14:15], v[144:145], v[134:135]
	v_mul_f64 v[146:147], v[146:147], s[14:15]
	v_fma_f64 v[134:135], v[144:145], s[14:15], -v[134:135]
	v_add_f64 v[186:187], v[186:187], v[194:195]
	v_fma_f64 v[194:195], s[12:13], v[132:133], v[146:147]
	v_add_f64 v[134:135], v[134:135], v[142:143]
	v_fmac_f64_e32 v[146:147], s[16:17], v[132:133]
	v_add_f64 v[142:143], v[126:127], v[130:131]
	v_add_f64 v[126:127], v[126:127], -v[130:131]
	v_add_f64 v[182:183], v[182:183], v[190:191]
	v_fma_f64 v[190:191], s[38:39], v[132:133], v[188:189]
	v_fmac_f64_e32 v[188:189], s[42:43], v[132:133]
	v_add_f64 v[132:133], v[146:147], v[140:141]
	v_add_f64 v[140:141], v[124:125], v[128:129]
	v_add_f64 v[124:125], v[124:125], -v[128:129]
	v_mul_f64 v[128:129], v[126:127], s[30:31]
	v_fma_f64 v[130:131], s[34:35], v[140:141], v[128:129]
	v_add_f64 v[130:131], v[130:131], v[138:139]
	v_mul_f64 v[138:139], v[142:143], s[34:35]
	v_fma_f64 v[144:145], s[36:37], v[124:125], v[138:139]
	v_fma_f64 v[128:129], v[140:141], s[34:35], -v[128:129]
	v_fmac_f64_e32 v[138:139], s[30:31], v[124:125]
	v_add_f64 v[128:129], v[128:129], v[136:137]
	v_add_f64 v[136:137], v[138:139], v[148:149]
	v_mul_f64 v[138:139], v[126:127], s[10:11]
	v_fma_f64 v[146:147], s[6:7], v[140:141], v[138:139]
	v_fma_f64 v[138:139], v[140:141], s[6:7], -v[138:139]
	v_mul_f64 v[148:149], v[142:143], s[6:7]
	v_add_f64 v[138:139], v[138:139], v[150:151]
	v_mul_f64 v[150:151], v[126:127], s[12:13]
	v_add_f64 v[144:145], v[144:145], v[152:153]
	v_add_f64 v[146:147], v[146:147], v[154:155]
	v_fma_f64 v[152:153], s[4:5], v[124:125], v[148:149]
	v_fmac_f64_e32 v[148:149], s[10:11], v[124:125]
	v_fma_f64 v[154:155], s[14:15], v[140:141], v[150:151]
	v_fma_f64 v[150:151], v[140:141], s[14:15], -v[150:151]
	v_add_f64 v[148:149], v[148:149], v[156:157]
	v_mul_f64 v[156:157], v[142:143], s[14:15]
	v_add_f64 v[150:151], v[150:151], v[160:161]
	v_mul_f64 v[160:161], v[126:127], s[42:43]
	v_add_f64 v[152:153], v[152:153], v[158:159]
	v_add_f64 v[154:155], v[154:155], v[162:163]
	v_fma_f64 v[158:159], s[16:17], v[124:125], v[156:157]
	v_fmac_f64_e32 v[156:157], s[12:13], v[124:125]
	v_fma_f64 v[162:163], s[40:41], v[140:141], v[160:161]
	v_fma_f64 v[160:161], v[140:141], s[40:41], -v[160:161]
	v_add_f64 v[206:207], v[206:207], v[214:215]
	v_add_f64 v[208:209], v[208:209], v[216:217]
	v_add_f64 v[156:157], v[156:157], v[168:169]
	v_mul_f64 v[168:169], v[142:143], s[40:41]
	v_add_f64 v[160:161], v[160:161], v[174:175]
	v_mul_f64 v[174:175], v[126:127], s[22:23]
	v_add_f64 v[204:205], v[204:205], v[212:213]
	v_add_f64 v[210:211], v[210:211], v[218:219]
	;; [unrolled: 1-line block ×6, first 2 shown]
	v_fma_f64 v[176:177], s[38:39], v[124:125], v[168:169]
	v_fmac_f64_e32 v[168:169], s[42:43], v[124:125]
	v_fma_f64 v[178:179], s[20:21], v[140:141], v[174:175]
	v_fma_f64 v[174:175], v[140:141], s[20:21], -v[174:175]
	v_mul_f64 v[126:127], v[126:127], s[24:25]
	v_add_f64 v[196:197], v[196:197], v[204:205]
	v_add_f64 v[202:203], v[202:203], v[210:211]
	;; [unrolled: 1-line block ×5, first 2 shown]
	v_mul_f64 v[180:181], v[142:143], s[20:21]
	v_add_f64 v[174:175], v[174:175], v[184:185]
	v_fma_f64 v[184:185], s[26:27], v[140:141], v[126:127]
	v_mul_f64 v[142:143], v[142:143], s[26:27]
	v_add_f64 v[198:199], v[114:115], -v[122:123]
	v_add_f64 v[188:189], v[188:189], v[196:197]
	v_add_f64 v[194:195], v[194:195], v[202:203]
	;; [unrolled: 1-line block ×4, first 2 shown]
	v_fma_f64 v[186:187], s[28:29], v[124:125], v[142:143]
	v_add_f64 v[192:193], v[112:113], v[120:121]
	v_add_f64 v[196:197], v[112:113], -v[120:121]
	v_mul_f64 v[112:113], v[198:199], s[38:39]
	v_add_f64 v[186:187], v[186:187], v[194:195]
	v_add_f64 v[194:195], v[114:115], v[122:123]
	v_fma_f64 v[114:115], s[40:41], v[192:193], v[112:113]
	v_add_f64 v[120:121], v[114:115], v[130:131]
	v_mul_f64 v[114:115], v[194:195], s[40:41]
	v_fma_f64 v[112:113], v[192:193], s[40:41], -v[112:113]
	v_fma_f64 v[122:123], s[42:43], v[196:197], v[114:115]
	v_add_f64 v[112:113], v[112:113], v[128:129]
	v_fmac_f64_e32 v[114:115], s[38:39], v[196:197]
	v_mul_f64 v[128:129], v[198:199], s[22:23]
	v_add_f64 v[176:177], v[176:177], v[182:183]
	v_fma_f64 v[182:183], s[18:19], v[124:125], v[180:181]
	v_fmac_f64_e32 v[180:181], s[22:23], v[124:125]
	v_fma_f64 v[126:127], v[140:141], s[26:27], -v[126:127]
	v_fmac_f64_e32 v[142:143], s[24:25], v[124:125]
	v_add_f64 v[122:123], v[122:123], v[144:145]
	v_add_f64 v[114:115], v[114:115], v[136:137]
	v_fma_f64 v[124:125], s[20:21], v[192:193], v[128:129]
	v_mul_f64 v[130:131], v[194:195], s[20:21]
	v_fma_f64 v[128:129], v[192:193], s[20:21], -v[128:129]
	v_mul_f64 v[136:137], v[198:199], s[30:31]
	v_mul_f64 v[144:145], v[198:199], s[16:17]
	v_add_f64 v[182:183], v[182:183], v[190:191]
	v_add_f64 v[180:181], v[180:181], v[188:189]
	;; [unrolled: 1-line block ×4, first 2 shown]
	v_fma_f64 v[126:127], s[18:19], v[196:197], v[130:131]
	v_add_f64 v[128:129], v[128:129], v[138:139]
	v_fma_f64 v[132:133], s[34:35], v[192:193], v[136:137]
	v_mul_f64 v[138:139], v[194:195], s[34:35]
	v_fma_f64 v[140:141], s[14:15], v[192:193], v[144:145]
	v_fma_f64 v[144:145], v[192:193], s[14:15], -v[144:145]
	v_add_f64 v[124:125], v[124:125], v[146:147]
	v_add_f64 v[126:127], v[126:127], v[152:153]
	v_fmac_f64_e32 v[130:131], s[22:23], v[196:197]
	v_add_f64 v[132:133], v[132:133], v[154:155]
	v_fma_f64 v[134:135], s[36:37], v[196:197], v[138:139]
	v_fma_f64 v[136:137], v[192:193], s[34:35], -v[136:137]
	v_fmac_f64_e32 v[138:139], s[30:31], v[196:197]
	v_add_f64 v[140:141], v[140:141], v[162:163]
	v_mul_f64 v[146:147], v[194:195], s[14:15]
	v_add_f64 v[144:145], v[144:145], v[160:161]
	v_mul_f64 v[152:153], v[198:199], s[24:25]
	v_mul_f64 v[154:155], v[194:195], s[26:27]
	;; [unrolled: 1-line block ×4, first 2 shown]
	v_add_f64 v[130:131], v[130:131], v[148:149]
	v_add_f64 v[134:135], v[134:135], v[158:159]
	;; [unrolled: 1-line block ×4, first 2 shown]
	v_fma_f64 v[142:143], s[12:13], v[196:197], v[146:147]
	v_fmac_f64_e32 v[146:147], s[16:17], v[196:197]
	v_fma_f64 v[148:149], s[26:27], v[192:193], v[152:153]
	v_fma_f64 v[150:151], s[28:29], v[196:197], v[154:155]
	v_fma_f64 v[152:153], v[192:193], s[26:27], -v[152:153]
	v_fmac_f64_e32 v[154:155], s[24:25], v[196:197]
	v_fma_f64 v[156:157], s[6:7], v[192:193], v[160:161]
	v_fma_f64 v[158:159], s[4:5], v[196:197], v[162:163]
	v_fma_f64 v[160:161], v[192:193], s[6:7], -v[160:161]
	v_fmac_f64_e32 v[162:163], s[10:11], v[196:197]
	v_add_f64 v[142:143], v[142:143], v[176:177]
	v_add_f64 v[146:147], v[146:147], v[168:169]
	;; [unrolled: 1-line block ×10, first 2 shown]
	s_waitcnt lgkmcnt(0)
	; wave barrier
	ds_write_b128 v173, v[116:119]
	ds_write_b128 v173, v[120:123] offset:16
	ds_write_b128 v173, v[124:127] offset:32
	ds_write_b128 v173, v[132:135] offset:48
	ds_write_b128 v173, v[140:143] offset:64
	ds_write_b128 v173, v[148:151] offset:80
	ds_write_b128 v173, v[156:159] offset:96
	ds_write_b128 v173, v[160:163] offset:112
	ds_write_b128 v173, v[152:155] offset:128
	ds_write_b128 v173, v[144:147] offset:144
	ds_write_b128 v173, v[136:139] offset:160
	ds_write_b128 v173, v[128:131] offset:176
	ds_write_b128 v173, v[112:115] offset:192
	s_waitcnt lgkmcnt(0)
	; wave barrier
	s_waitcnt lgkmcnt(0)
	ds_read_b128 v[124:127], v171
	ds_read_b128 v[120:123], v170 offset:64
	ds_read_b128 v[152:155], v170 offset:416
	;; [unrolled: 1-line block ×11, first 2 shown]
	s_and_saveexec_b64 s[4:5], vcc
	s_cbranch_execz .LBB0_7
; %bb.6:
	ds_read_b128 v[112:115], v166 offset:192
	ds_read_b128 v[100:103], v172 offset:400
	;; [unrolled: 1-line block ×4, first 2 shown]
.LBB0_7:
	s_or_b64 exec, exec, s[4:5]
	s_waitcnt lgkmcnt(7)
	v_mul_f64 v[168:169], v[74:75], v[162:163]
	v_mul_f64 v[74:75], v[74:75], v[160:161]
	v_fmac_f64_e32 v[168:169], v[72:73], v[160:161]
	v_fma_f64 v[72:73], v[72:73], v[162:163], -v[74:75]
	v_mul_f64 v[74:75], v[70:71], v[154:155]
	v_mul_f64 v[70:71], v[70:71], v[152:153]
	v_fmac_f64_e32 v[74:75], v[68:69], v[152:153]
	v_fma_f64 v[68:69], v[68:69], v[154:155], -v[70:71]
	s_waitcnt lgkmcnt(3)
	v_mul_f64 v[70:71], v[66:67], v[158:159]
	v_mul_f64 v[66:67], v[66:67], v[156:157]
	v_fmac_f64_e32 v[70:71], v[64:65], v[156:157]
	v_fma_f64 v[64:65], v[64:65], v[158:159], -v[66:67]
	v_mul_f64 v[152:153], v[86:87], v[150:151]
	v_mul_f64 v[66:67], v[86:87], v[148:149]
	v_fmac_f64_e32 v[152:153], v[84:85], v[148:149]
	v_fma_f64 v[84:85], v[84:85], v[150:151], -v[66:67]
	;; [unrolled: 4-line block ×3, first 2 shown]
	s_waitcnt lgkmcnt(1)
	v_mul_f64 v[66:67], v[78:79], v[144:145]
	v_fma_f64 v[140:141], v[76:77], v[146:147], -v[66:67]
	v_mul_f64 v[142:143], v[98:99], v[138:139]
	v_mul_f64 v[66:67], v[98:99], v[136:137]
	v_fmac_f64_e32 v[142:143], v[96:97], v[136:137]
	v_fma_f64 v[96:97], v[96:97], v[138:139], -v[66:67]
	v_mul_f64 v[98:99], v[94:95], v[134:135]
	v_mul_f64 v[66:67], v[94:95], v[132:133]
	;; [unrolled: 1-line block ×3, first 2 shown]
	v_fmac_f64_e32 v[98:99], v[92:93], v[132:133]
	v_fma_f64 v[132:133], v[92:93], v[134:135], -v[66:67]
	s_waitcnt lgkmcnt(0)
	v_mul_f64 v[134:135], v[90:91], v[130:131]
	v_mul_f64 v[66:67], v[90:91], v[128:129]
	v_add_f64 v[78:79], v[126:127], -v[68:69]
	v_add_f64 v[90:91], v[72:73], -v[64:65]
	v_fmac_f64_e32 v[82:83], v[76:77], v[144:145]
	v_fmac_f64_e32 v[134:135], v[88:89], v[128:129]
	v_fma_f64 v[128:129], v[88:89], v[130:131], -v[66:67]
	v_add_f64 v[76:77], v[124:125], -v[74:75]
	v_fma_f64 v[74:75], v[126:127], 2.0, -v[78:79]
	v_fma_f64 v[66:67], v[72:73], 2.0, -v[90:91]
	v_add_f64 v[92:93], v[120:121], -v[86:87]
	v_add_f64 v[88:89], v[168:169], -v[70:71]
	;; [unrolled: 1-line block ×3, first 2 shown]
	v_add_f64 v[72:73], v[76:77], v[90:91]
	v_add_f64 v[94:95], v[122:123], -v[80:81]
	v_fma_f64 v[86:87], v[120:121], 2.0, -v[92:93]
	v_add_f64 v[90:91], v[152:153], -v[82:83]
	v_add_f64 v[120:121], v[84:85], -v[140:141]
	v_fma_f64 v[64:65], v[168:169], 2.0, -v[88:89]
	v_fma_f64 v[70:71], v[74:75], 2.0, -v[66:67]
	v_add_f64 v[74:75], v[78:79], -v[88:89]
	v_fma_f64 v[88:89], v[122:123], 2.0, -v[94:95]
	v_fma_f64 v[80:81], v[152:153], 2.0, -v[90:91]
	;; [unrolled: 1-line block ×3, first 2 shown]
	v_add_f64 v[80:81], v[86:87], -v[80:81]
	v_add_f64 v[82:83], v[88:89], -v[82:83]
	v_fma_f64 v[68:69], v[124:125], 2.0, -v[76:77]
	v_fma_f64 v[84:85], v[86:87], 2.0, -v[80:81]
	v_fma_f64 v[86:87], v[88:89], 2.0, -v[82:83]
	v_add_f64 v[88:89], v[92:93], v[120:121]
	v_add_f64 v[124:125], v[116:117], -v[98:99]
	v_add_f64 v[126:127], v[118:119], -v[132:133]
	;; [unrolled: 1-line block ×5, first 2 shown]
	v_fma_f64 v[116:117], v[116:117], 2.0, -v[124:125]
	v_fma_f64 v[118:119], v[118:119], 2.0, -v[126:127]
	;; [unrolled: 1-line block ×5, first 2 shown]
	v_add_f64 v[90:91], v[94:95], -v[90:91]
	v_add_f64 v[96:97], v[116:117], -v[98:99]
	;; [unrolled: 1-line block ×3, first 2 shown]
	v_add_f64 v[120:121], v[124:125], v[120:121]
	v_add_f64 v[122:123], v[126:127], -v[122:123]
	v_fma_f64 v[76:77], v[76:77], 2.0, -v[72:73]
	v_fma_f64 v[78:79], v[78:79], 2.0, -v[74:75]
	;; [unrolled: 1-line block ×8, first 2 shown]
	ds_write_b128 v171, v[68:71]
	ds_write_b128 v170, v[76:79] offset:208
	ds_write_b128 v170, v[64:67] offset:416
	;; [unrolled: 1-line block ×11, first 2 shown]
	s_and_saveexec_b64 s[4:5], vcc
	s_cbranch_execz .LBB0_9
; %bb.8:
	v_mul_f64 v[64:65], v[62:63], v[104:105]
	v_fma_f64 v[64:65], v[60:61], v[106:107], -v[64:65]
	v_add_f64 v[70:71], v[114:115], -v[64:65]
	v_mul_f64 v[72:73], v[58:59], v[102:103]
	v_mul_f64 v[64:65], v[54:55], v[110:111]
	;; [unrolled: 1-line block ×5, first 2 shown]
	v_fmac_f64_e32 v[72:73], v[56:57], v[100:101]
	v_fmac_f64_e32 v[64:65], v[52:53], v[108:109]
	;; [unrolled: 1-line block ×3, first 2 shown]
	v_fma_f64 v[56:57], v[56:57], v[102:103], -v[58:59]
	v_fma_f64 v[52:53], v[52:53], v[110:111], -v[54:55]
	v_add_f64 v[60:61], v[112:113], -v[62:63]
	v_add_f64 v[52:53], v[56:57], -v[52:53]
	;; [unrolled: 1-line block ×3, first 2 shown]
	v_add_f64 v[62:63], v[60:61], v[52:53]
	v_fma_f64 v[58:59], v[114:115], 2.0, -v[70:71]
	v_fma_f64 v[52:53], v[56:57], 2.0, -v[52:53]
	v_add_f64 v[54:55], v[58:59], -v[52:53]
	v_fma_f64 v[56:57], v[112:113], 2.0, -v[60:61]
	v_fma_f64 v[52:53], v[72:73], 2.0, -v[74:75]
	v_add_f64 v[52:53], v[56:57], -v[52:53]
	v_add_f64 v[64:65], v[70:71], -v[74:75]
	v_fma_f64 v[58:59], v[58:59], 2.0, -v[54:55]
	v_fma_f64 v[56:57], v[56:57], 2.0, -v[52:53]
	v_fma_f64 v[68:69], v[70:71], 2.0, -v[64:65]
	v_fma_f64 v[66:67], v[60:61], 2.0, -v[62:63]
	ds_write_b128 v166, v[56:59] offset:192
	ds_write_b128 v172, v[66:69] offset:400
	;; [unrolled: 1-line block ×4, first 2 shown]
.LBB0_9:
	s_or_b64 exec, exec, s[4:5]
	s_waitcnt lgkmcnt(0)
	; wave barrier
	s_waitcnt lgkmcnt(0)
	ds_read_b128 v[52:55], v171
	v_mad_u64_u32 v[66:67], s[4:5], s2, v164, 0
	v_mov_b32_e32 v56, v67
	v_mad_u64_u32 v[56:57], s[2:3], s3, v164, v[56:57]
	v_mov_b32_e32 v67, v56
	ds_read_b128 v[56:59], v170 offset:64
	s_waitcnt lgkmcnt(1)
	v_mul_f64 v[60:61], v[6:7], v[54:55]
	s_mov_b32 s2, 0x13b13b14
	v_mul_f64 v[6:7], v[6:7], v[52:53]
	v_fmac_f64_e32 v[60:61], v[4:5], v[52:53]
	s_mov_b32 s3, 0x3f93b13b
	v_fma_f64 v[4:5], v[4:5], v[54:55], -v[6:7]
	v_mul_f64 v[62:63], v[4:5], s[2:3]
	v_mad_u64_u32 v[4:5], s[4:5], s0, v165, 0
	v_mov_b32_e32 v6, v5
	v_mov_b32_e32 v64, s8
	;; [unrolled: 1-line block ×3, first 2 shown]
	v_mad_u64_u32 v[6:7], s[4:5], s1, v165, v[6:7]
	v_mov_b32_e32 v5, v6
	v_lshl_add_u64 v[6:7], v[66:67], 4, v[64:65]
	v_lshl_add_u64 v[52:53], v[4:5], 4, v[6:7]
	s_waitcnt lgkmcnt(0)
	v_mul_f64 v[4:5], v[46:47], v[58:59]
	v_mul_f64 v[6:7], v[46:47], v[56:57]
	v_fmac_f64_e32 v[4:5], v[44:45], v[56:57]
	v_fma_f64 v[6:7], v[44:45], v[58:59], -v[6:7]
	ds_read_b128 v[44:47], v170 offset:128
	ds_read_b128 v[56:59], v166 offset:192
	v_mul_f64 v[60:61], v[60:61], s[2:3]
	s_lshl_b64 s[0:1], s[0:1], 6
	global_store_dwordx4 v[52:53], v[60:63], off
	v_mul_f64 v[4:5], v[4:5], s[2:3]
	v_mul_f64 v[6:7], v[6:7], s[2:3]
	v_lshl_add_u64 v[60:61], v[52:53], 0, s[0:1]
	global_store_dwordx4 v[60:61], v[4:7], off
	ds_read_b128 v[4:7], v170 offset:256
	s_waitcnt lgkmcnt(2)
	v_mul_f64 v[52:53], v[2:3], v[46:47]
	v_mul_f64 v[2:3], v[2:3], v[44:45]
	v_fmac_f64_e32 v[52:53], v[0:1], v[44:45]
	v_fma_f64 v[0:1], v[0:1], v[46:47], -v[2:3]
	v_mul_f64 v[54:55], v[0:1], s[2:3]
	s_waitcnt lgkmcnt(1)
	v_mul_f64 v[0:1], v[10:11], v[58:59]
	v_mul_f64 v[2:3], v[10:11], v[56:57]
	v_lshl_add_u64 v[44:45], v[60:61], 0, s[0:1]
	v_fmac_f64_e32 v[0:1], v[8:9], v[56:57]
	v_fma_f64 v[2:3], v[8:9], v[58:59], -v[2:3]
	v_mul_f64 v[52:53], v[52:53], s[2:3]
	v_mul_f64 v[0:1], v[0:1], s[2:3]
	v_mul_f64 v[2:3], v[2:3], s[2:3]
	v_lshl_add_u64 v[8:9], v[44:45], 0, s[0:1]
	global_store_dwordx4 v[44:45], v[52:55], off
	global_store_dwordx4 v[8:9], v[0:3], off
	s_waitcnt lgkmcnt(0)
	s_nop 0
	v_mul_f64 v[0:1], v[30:31], v[6:7]
	v_mul_f64 v[2:3], v[30:31], v[4:5]
	v_fmac_f64_e32 v[0:1], v[28:29], v[4:5]
	v_fma_f64 v[2:3], v[28:29], v[6:7], -v[2:3]
	ds_read_b128 v[4:7], v170 offset:320
	v_mul_f64 v[0:1], v[0:1], s[2:3]
	v_mul_f64 v[2:3], v[2:3], s[2:3]
	v_lshl_add_u64 v[28:29], v[8:9], 0, s[0:1]
	global_store_dwordx4 v[28:29], v[0:3], off
	ds_read_b128 v[0:3], v170 offset:384
	s_waitcnt lgkmcnt(1)
	v_mul_f64 v[8:9], v[14:15], v[6:7]
	v_fmac_f64_e32 v[8:9], v[12:13], v[4:5]
	v_mul_f64 v[4:5], v[14:15], v[4:5]
	v_fma_f64 v[4:5], v[12:13], v[6:7], -v[4:5]
	v_mul_f64 v[10:11], v[4:5], s[2:3]
	s_waitcnt lgkmcnt(0)
	v_mul_f64 v[4:5], v[34:35], v[2:3]
	v_fmac_f64_e32 v[4:5], v[32:33], v[0:1]
	v_mul_f64 v[0:1], v[34:35], v[0:1]
	v_fma_f64 v[6:7], v[32:33], v[2:3], -v[0:1]
	ds_read_b128 v[0:3], v170 offset:448
	v_mul_f64 v[8:9], v[8:9], s[2:3]
	v_lshl_add_u64 v[12:13], v[28:29], 0, s[0:1]
	global_store_dwordx4 v[12:13], v[8:11], off
	v_mul_f64 v[4:5], v[4:5], s[2:3]
	v_mul_f64 v[6:7], v[6:7], s[2:3]
	v_lshl_add_u64 v[12:13], v[12:13], 0, s[0:1]
	global_store_dwordx4 v[12:13], v[4:7], off
	ds_read_b128 v[4:7], v170 offset:512
	s_waitcnt lgkmcnt(1)
	v_mul_f64 v[8:9], v[18:19], v[2:3]
	v_fmac_f64_e32 v[8:9], v[16:17], v[0:1]
	v_mul_f64 v[0:1], v[18:19], v[0:1]
	v_fma_f64 v[0:1], v[16:17], v[2:3], -v[0:1]
	v_mul_f64 v[10:11], v[0:1], s[2:3]
	s_waitcnt lgkmcnt(0)
	v_mul_f64 v[0:1], v[38:39], v[6:7]
	v_mul_f64 v[2:3], v[38:39], v[4:5]
	v_fmac_f64_e32 v[0:1], v[36:37], v[4:5]
	v_fma_f64 v[2:3], v[36:37], v[6:7], -v[2:3]
	ds_read_b128 v[4:7], v170 offset:576
	v_mul_f64 v[8:9], v[8:9], s[2:3]
	v_lshl_add_u64 v[12:13], v[12:13], 0, s[0:1]
	global_store_dwordx4 v[12:13], v[8:11], off
	v_mul_f64 v[0:1], v[0:1], s[2:3]
	v_mul_f64 v[2:3], v[2:3], s[2:3]
	v_lshl_add_u64 v[12:13], v[12:13], 0, s[0:1]
	global_store_dwordx4 v[12:13], v[0:3], off
	ds_read_b128 v[0:3], v170 offset:640
	s_waitcnt lgkmcnt(1)
	v_mul_f64 v[8:9], v[22:23], v[6:7]
	v_fmac_f64_e32 v[8:9], v[20:21], v[4:5]
	v_mul_f64 v[4:5], v[22:23], v[4:5]
	v_fma_f64 v[4:5], v[20:21], v[6:7], -v[4:5]
	v_mul_f64 v[10:11], v[4:5], s[2:3]
	s_waitcnt lgkmcnt(0)
	v_mul_f64 v[4:5], v[42:43], v[2:3]
	v_fmac_f64_e32 v[4:5], v[40:41], v[0:1]
	v_mul_f64 v[0:1], v[42:43], v[0:1]
	v_fma_f64 v[6:7], v[40:41], v[2:3], -v[0:1]
	ds_read_b128 v[0:3], v170 offset:704
	v_mul_f64 v[8:9], v[8:9], s[2:3]
	v_lshl_add_u64 v[12:13], v[12:13], 0, s[0:1]
	global_store_dwordx4 v[12:13], v[8:11], off
	v_mul_f64 v[4:5], v[4:5], s[2:3]
	v_mul_f64 v[6:7], v[6:7], s[2:3]
	v_lshl_add_u64 v[12:13], v[12:13], 0, s[0:1]
	global_store_dwordx4 v[12:13], v[4:7], off
	ds_read_b128 v[4:7], v170 offset:768
	s_waitcnt lgkmcnt(1)
	v_mul_f64 v[8:9], v[26:27], v[2:3]
	v_fmac_f64_e32 v[8:9], v[24:25], v[0:1]
	v_mul_f64 v[0:1], v[26:27], v[0:1]
	v_fma_f64 v[0:1], v[24:25], v[2:3], -v[0:1]
	v_mul_f64 v[10:11], v[0:1], s[2:3]
	s_waitcnt lgkmcnt(0)
	v_mul_f64 v[0:1], v[50:51], v[6:7]
	v_mul_f64 v[2:3], v[50:51], v[4:5]
	v_lshl_add_u64 v[12:13], v[12:13], 0, s[0:1]
	v_fmac_f64_e32 v[0:1], v[48:49], v[4:5]
	v_fma_f64 v[2:3], v[48:49], v[6:7], -v[2:3]
	v_mul_f64 v[8:9], v[8:9], s[2:3]
	v_mul_f64 v[0:1], v[0:1], s[2:3]
	;; [unrolled: 1-line block ×3, first 2 shown]
	v_lshl_add_u64 v[4:5], v[12:13], 0, s[0:1]
	global_store_dwordx4 v[12:13], v[8:11], off
	global_store_dwordx4 v[4:5], v[0:3], off
.LBB0_10:
	s_endpgm
	.section	.rodata,"a",@progbits
	.p2align	6, 0x0
	.amdhsa_kernel bluestein_single_back_len52_dim1_dp_op_CI_CI
		.amdhsa_group_segment_fixed_size 13312
		.amdhsa_private_segment_fixed_size 0
		.amdhsa_kernarg_size 104
		.amdhsa_user_sgpr_count 2
		.amdhsa_user_sgpr_dispatch_ptr 0
		.amdhsa_user_sgpr_queue_ptr 0
		.amdhsa_user_sgpr_kernarg_segment_ptr 1
		.amdhsa_user_sgpr_dispatch_id 0
		.amdhsa_user_sgpr_kernarg_preload_length 0
		.amdhsa_user_sgpr_kernarg_preload_offset 0
		.amdhsa_user_sgpr_private_segment_size 0
		.amdhsa_uses_dynamic_stack 0
		.amdhsa_enable_private_segment 0
		.amdhsa_system_sgpr_workgroup_id_x 1
		.amdhsa_system_sgpr_workgroup_id_y 0
		.amdhsa_system_sgpr_workgroup_id_z 0
		.amdhsa_system_sgpr_workgroup_info 0
		.amdhsa_system_vgpr_workitem_id 0
		.amdhsa_next_free_vgpr 242
		.amdhsa_next_free_sgpr 44
		.amdhsa_accum_offset 244
		.amdhsa_reserve_vcc 1
		.amdhsa_float_round_mode_32 0
		.amdhsa_float_round_mode_16_64 0
		.amdhsa_float_denorm_mode_32 3
		.amdhsa_float_denorm_mode_16_64 3
		.amdhsa_dx10_clamp 1
		.amdhsa_ieee_mode 1
		.amdhsa_fp16_overflow 0
		.amdhsa_tg_split 0
		.amdhsa_exception_fp_ieee_invalid_op 0
		.amdhsa_exception_fp_denorm_src 0
		.amdhsa_exception_fp_ieee_div_zero 0
		.amdhsa_exception_fp_ieee_overflow 0
		.amdhsa_exception_fp_ieee_underflow 0
		.amdhsa_exception_fp_ieee_inexact 0
		.amdhsa_exception_int_div_zero 0
	.end_amdhsa_kernel
	.text
.Lfunc_end0:
	.size	bluestein_single_back_len52_dim1_dp_op_CI_CI, .Lfunc_end0-bluestein_single_back_len52_dim1_dp_op_CI_CI
                                        ; -- End function
	.section	.AMDGPU.csdata,"",@progbits
; Kernel info:
; codeLenInByte = 12592
; NumSgprs: 50
; NumVgprs: 242
; NumAgprs: 0
; TotalNumVgprs: 242
; ScratchSize: 0
; MemoryBound: 0
; FloatMode: 240
; IeeeMode: 1
; LDSByteSize: 13312 bytes/workgroup (compile time only)
; SGPRBlocks: 6
; VGPRBlocks: 30
; NumSGPRsForWavesPerEU: 50
; NumVGPRsForWavesPerEU: 242
; AccumOffset: 244
; Occupancy: 2
; WaveLimiterHint : 1
; COMPUTE_PGM_RSRC2:SCRATCH_EN: 0
; COMPUTE_PGM_RSRC2:USER_SGPR: 2
; COMPUTE_PGM_RSRC2:TRAP_HANDLER: 0
; COMPUTE_PGM_RSRC2:TGID_X_EN: 1
; COMPUTE_PGM_RSRC2:TGID_Y_EN: 0
; COMPUTE_PGM_RSRC2:TGID_Z_EN: 0
; COMPUTE_PGM_RSRC2:TIDIG_COMP_CNT: 0
; COMPUTE_PGM_RSRC3_GFX90A:ACCUM_OFFSET: 60
; COMPUTE_PGM_RSRC3_GFX90A:TG_SPLIT: 0
	.text
	.p2alignl 6, 3212836864
	.fill 256, 4, 3212836864
	.type	__hip_cuid_b9f1754486fbee80,@object ; @__hip_cuid_b9f1754486fbee80
	.section	.bss,"aw",@nobits
	.globl	__hip_cuid_b9f1754486fbee80
__hip_cuid_b9f1754486fbee80:
	.byte	0                               ; 0x0
	.size	__hip_cuid_b9f1754486fbee80, 1

	.ident	"AMD clang version 19.0.0git (https://github.com/RadeonOpenCompute/llvm-project roc-6.4.0 25133 c7fe45cf4b819c5991fe208aaa96edf142730f1d)"
	.section	".note.GNU-stack","",@progbits
	.addrsig
	.addrsig_sym __hip_cuid_b9f1754486fbee80
	.amdgpu_metadata
---
amdhsa.kernels:
  - .agpr_count:     0
    .args:
      - .actual_access:  read_only
        .address_space:  global
        .offset:         0
        .size:           8
        .value_kind:     global_buffer
      - .actual_access:  read_only
        .address_space:  global
        .offset:         8
        .size:           8
        .value_kind:     global_buffer
      - .actual_access:  read_only
        .address_space:  global
        .offset:         16
        .size:           8
        .value_kind:     global_buffer
      - .actual_access:  read_only
        .address_space:  global
        .offset:         24
        .size:           8
        .value_kind:     global_buffer
      - .actual_access:  read_only
        .address_space:  global
        .offset:         32
        .size:           8
        .value_kind:     global_buffer
      - .offset:         40
        .size:           8
        .value_kind:     by_value
      - .address_space:  global
        .offset:         48
        .size:           8
        .value_kind:     global_buffer
      - .address_space:  global
        .offset:         56
        .size:           8
        .value_kind:     global_buffer
      - .address_space:  global
        .offset:         64
        .size:           8
        .value_kind:     global_buffer
      - .address_space:  global
        .offset:         72
        .size:           8
        .value_kind:     global_buffer
      - .offset:         80
        .size:           4
        .value_kind:     by_value
      - .address_space:  global
        .offset:         88
        .size:           8
        .value_kind:     global_buffer
      - .address_space:  global
        .offset:         96
        .size:           8
        .value_kind:     global_buffer
    .group_segment_fixed_size: 13312
    .kernarg_segment_align: 8
    .kernarg_segment_size: 104
    .language:       OpenCL C
    .language_version:
      - 2
      - 0
    .max_flat_workgroup_size: 64
    .name:           bluestein_single_back_len52_dim1_dp_op_CI_CI
    .private_segment_fixed_size: 0
    .sgpr_count:     50
    .sgpr_spill_count: 0
    .symbol:         bluestein_single_back_len52_dim1_dp_op_CI_CI.kd
    .uniform_work_group_size: 1
    .uses_dynamic_stack: false
    .vgpr_count:     242
    .vgpr_spill_count: 0
    .wavefront_size: 64
amdhsa.target:   amdgcn-amd-amdhsa--gfx950
amdhsa.version:
  - 1
  - 2
...

	.end_amdgpu_metadata
